;; amdgpu-corpus repo=ROCm/rocFFT kind=compiled arch=gfx1030 opt=O3
	.text
	.amdgcn_target "amdgcn-amd-amdhsa--gfx1030"
	.amdhsa_code_object_version 6
	.protected	fft_rtc_back_len1008_factors_2_2_2_2_3_3_7_wgs_56_tpt_56_halfLds_sp_ip_CI_unitstride_sbrr_R2C_dirReg ; -- Begin function fft_rtc_back_len1008_factors_2_2_2_2_3_3_7_wgs_56_tpt_56_halfLds_sp_ip_CI_unitstride_sbrr_R2C_dirReg
	.globl	fft_rtc_back_len1008_factors_2_2_2_2_3_3_7_wgs_56_tpt_56_halfLds_sp_ip_CI_unitstride_sbrr_R2C_dirReg
	.p2align	8
	.type	fft_rtc_back_len1008_factors_2_2_2_2_3_3_7_wgs_56_tpt_56_halfLds_sp_ip_CI_unitstride_sbrr_R2C_dirReg,@function
fft_rtc_back_len1008_factors_2_2_2_2_3_3_7_wgs_56_tpt_56_halfLds_sp_ip_CI_unitstride_sbrr_R2C_dirReg: ; @fft_rtc_back_len1008_factors_2_2_2_2_3_3_7_wgs_56_tpt_56_halfLds_sp_ip_CI_unitstride_sbrr_R2C_dirReg
; %bb.0:
	s_clause 0x2
	s_load_dwordx4 s[8:11], s[4:5], 0x0
	s_load_dwordx2 s[2:3], s[4:5], 0x50
	s_load_dwordx2 s[12:13], s[4:5], 0x18
	v_mul_u32_u24_e32 v1, 0x493, v0
	v_mov_b32_e32 v3, 0
	v_add_nc_u32_sdwa v5, s6, v1 dst_sel:DWORD dst_unused:UNUSED_PAD src0_sel:DWORD src1_sel:WORD_1
	v_mov_b32_e32 v1, 0
	v_mov_b32_e32 v6, v3
	v_mov_b32_e32 v2, 0
	s_waitcnt lgkmcnt(0)
	v_cmp_lt_u64_e64 s0, s[10:11], 2
	s_and_b32 vcc_lo, exec_lo, s0
	s_cbranch_vccnz .LBB0_8
; %bb.1:
	s_load_dwordx2 s[0:1], s[4:5], 0x10
	v_mov_b32_e32 v1, 0
	s_add_u32 s6, s12, 8
	v_mov_b32_e32 v2, 0
	s_addc_u32 s7, s13, 0
	s_mov_b64 s[16:17], 1
	s_waitcnt lgkmcnt(0)
	s_add_u32 s14, s0, 8
	s_addc_u32 s15, s1, 0
.LBB0_2:                                ; =>This Inner Loop Header: Depth=1
	s_load_dwordx2 s[18:19], s[14:15], 0x0
                                        ; implicit-def: $vgpr7_vgpr8
	s_mov_b32 s0, exec_lo
	s_waitcnt lgkmcnt(0)
	v_or_b32_e32 v4, s19, v6
	v_cmpx_ne_u64_e32 0, v[3:4]
	s_xor_b32 s1, exec_lo, s0
	s_cbranch_execz .LBB0_4
; %bb.3:                                ;   in Loop: Header=BB0_2 Depth=1
	v_cvt_f32_u32_e32 v4, s18
	v_cvt_f32_u32_e32 v7, s19
	s_sub_u32 s0, 0, s18
	s_subb_u32 s20, 0, s19
	v_fmac_f32_e32 v4, 0x4f800000, v7
	v_rcp_f32_e32 v4, v4
	v_mul_f32_e32 v4, 0x5f7ffffc, v4
	v_mul_f32_e32 v7, 0x2f800000, v4
	v_trunc_f32_e32 v7, v7
	v_fmac_f32_e32 v4, 0xcf800000, v7
	v_cvt_u32_f32_e32 v7, v7
	v_cvt_u32_f32_e32 v4, v4
	v_mul_lo_u32 v8, s0, v7
	v_mul_hi_u32 v9, s0, v4
	v_mul_lo_u32 v10, s20, v4
	v_add_nc_u32_e32 v8, v9, v8
	v_mul_lo_u32 v9, s0, v4
	v_add_nc_u32_e32 v8, v8, v10
	v_mul_hi_u32 v10, v4, v9
	v_mul_lo_u32 v11, v4, v8
	v_mul_hi_u32 v12, v4, v8
	v_mul_hi_u32 v13, v7, v9
	v_mul_lo_u32 v9, v7, v9
	v_mul_hi_u32 v14, v7, v8
	v_mul_lo_u32 v8, v7, v8
	v_add_co_u32 v10, vcc_lo, v10, v11
	v_add_co_ci_u32_e32 v11, vcc_lo, 0, v12, vcc_lo
	v_add_co_u32 v9, vcc_lo, v10, v9
	v_add_co_ci_u32_e32 v9, vcc_lo, v11, v13, vcc_lo
	v_add_co_ci_u32_e32 v10, vcc_lo, 0, v14, vcc_lo
	v_add_co_u32 v8, vcc_lo, v9, v8
	v_add_co_ci_u32_e32 v9, vcc_lo, 0, v10, vcc_lo
	v_add_co_u32 v4, vcc_lo, v4, v8
	v_add_co_ci_u32_e32 v7, vcc_lo, v7, v9, vcc_lo
	v_mul_hi_u32 v8, s0, v4
	v_mul_lo_u32 v10, s20, v4
	v_mul_lo_u32 v9, s0, v7
	v_add_nc_u32_e32 v8, v8, v9
	v_mul_lo_u32 v9, s0, v4
	v_add_nc_u32_e32 v8, v8, v10
	v_mul_hi_u32 v10, v4, v9
	v_mul_lo_u32 v11, v4, v8
	v_mul_hi_u32 v12, v4, v8
	v_mul_hi_u32 v13, v7, v9
	v_mul_lo_u32 v9, v7, v9
	v_mul_hi_u32 v14, v7, v8
	v_mul_lo_u32 v8, v7, v8
	v_add_co_u32 v10, vcc_lo, v10, v11
	v_add_co_ci_u32_e32 v11, vcc_lo, 0, v12, vcc_lo
	v_add_co_u32 v9, vcc_lo, v10, v9
	v_add_co_ci_u32_e32 v9, vcc_lo, v11, v13, vcc_lo
	v_add_co_ci_u32_e32 v10, vcc_lo, 0, v14, vcc_lo
	v_add_co_u32 v8, vcc_lo, v9, v8
	v_add_co_ci_u32_e32 v9, vcc_lo, 0, v10, vcc_lo
	v_add_co_u32 v4, vcc_lo, v4, v8
	v_add_co_ci_u32_e32 v11, vcc_lo, v7, v9, vcc_lo
	v_mul_hi_u32 v13, v5, v4
	v_mad_u64_u32 v[9:10], null, v6, v4, 0
	v_mad_u64_u32 v[7:8], null, v5, v11, 0
	;; [unrolled: 1-line block ×3, first 2 shown]
	v_add_co_u32 v4, vcc_lo, v13, v7
	v_add_co_ci_u32_e32 v7, vcc_lo, 0, v8, vcc_lo
	v_add_co_u32 v4, vcc_lo, v4, v9
	v_add_co_ci_u32_e32 v4, vcc_lo, v7, v10, vcc_lo
	v_add_co_ci_u32_e32 v7, vcc_lo, 0, v12, vcc_lo
	v_add_co_u32 v4, vcc_lo, v4, v11
	v_add_co_ci_u32_e32 v9, vcc_lo, 0, v7, vcc_lo
	v_mul_lo_u32 v10, s19, v4
	v_mad_u64_u32 v[7:8], null, s18, v4, 0
	v_mul_lo_u32 v11, s18, v9
	v_sub_co_u32 v7, vcc_lo, v5, v7
	v_add3_u32 v8, v8, v11, v10
	v_sub_nc_u32_e32 v10, v6, v8
	v_subrev_co_ci_u32_e64 v10, s0, s19, v10, vcc_lo
	v_add_co_u32 v11, s0, v4, 2
	v_add_co_ci_u32_e64 v12, s0, 0, v9, s0
	v_sub_co_u32 v13, s0, v7, s18
	v_sub_co_ci_u32_e32 v8, vcc_lo, v6, v8, vcc_lo
	v_subrev_co_ci_u32_e64 v10, s0, 0, v10, s0
	v_cmp_le_u32_e32 vcc_lo, s18, v13
	v_cmp_eq_u32_e64 s0, s19, v8
	v_cndmask_b32_e64 v13, 0, -1, vcc_lo
	v_cmp_le_u32_e32 vcc_lo, s19, v10
	v_cndmask_b32_e64 v14, 0, -1, vcc_lo
	v_cmp_le_u32_e32 vcc_lo, s18, v7
	;; [unrolled: 2-line block ×3, first 2 shown]
	v_cndmask_b32_e64 v15, 0, -1, vcc_lo
	v_cmp_eq_u32_e32 vcc_lo, s19, v10
	v_cndmask_b32_e64 v7, v15, v7, s0
	v_cndmask_b32_e32 v10, v14, v13, vcc_lo
	v_add_co_u32 v13, vcc_lo, v4, 1
	v_add_co_ci_u32_e32 v14, vcc_lo, 0, v9, vcc_lo
	v_cmp_ne_u32_e32 vcc_lo, 0, v10
	v_cndmask_b32_e32 v8, v14, v12, vcc_lo
	v_cndmask_b32_e32 v10, v13, v11, vcc_lo
	v_cmp_ne_u32_e32 vcc_lo, 0, v7
	v_cndmask_b32_e32 v8, v9, v8, vcc_lo
	v_cndmask_b32_e32 v7, v4, v10, vcc_lo
.LBB0_4:                                ;   in Loop: Header=BB0_2 Depth=1
	s_andn2_saveexec_b32 s0, s1
	s_cbranch_execz .LBB0_6
; %bb.5:                                ;   in Loop: Header=BB0_2 Depth=1
	v_cvt_f32_u32_e32 v4, s18
	s_sub_i32 s1, 0, s18
	v_rcp_iflag_f32_e32 v4, v4
	v_mul_f32_e32 v4, 0x4f7ffffe, v4
	v_cvt_u32_f32_e32 v4, v4
	v_mul_lo_u32 v7, s1, v4
	v_mul_hi_u32 v7, v4, v7
	v_add_nc_u32_e32 v4, v4, v7
	v_mul_hi_u32 v4, v5, v4
	v_mul_lo_u32 v7, v4, s18
	v_add_nc_u32_e32 v8, 1, v4
	v_sub_nc_u32_e32 v7, v5, v7
	v_subrev_nc_u32_e32 v9, s18, v7
	v_cmp_le_u32_e32 vcc_lo, s18, v7
	v_cndmask_b32_e32 v7, v7, v9, vcc_lo
	v_cndmask_b32_e32 v4, v4, v8, vcc_lo
	v_cmp_le_u32_e32 vcc_lo, s18, v7
	v_add_nc_u32_e32 v8, 1, v4
	v_cndmask_b32_e32 v7, v4, v8, vcc_lo
	v_mov_b32_e32 v8, v3
.LBB0_6:                                ;   in Loop: Header=BB0_2 Depth=1
	s_or_b32 exec_lo, exec_lo, s0
	s_load_dwordx2 s[0:1], s[6:7], 0x0
	v_mul_lo_u32 v4, v8, s18
	v_mul_lo_u32 v11, v7, s19
	v_mad_u64_u32 v[9:10], null, v7, s18, 0
	s_add_u32 s16, s16, 1
	s_addc_u32 s17, s17, 0
	s_add_u32 s6, s6, 8
	s_addc_u32 s7, s7, 0
	;; [unrolled: 2-line block ×3, first 2 shown]
	v_add3_u32 v4, v10, v11, v4
	v_sub_co_u32 v5, vcc_lo, v5, v9
	v_sub_co_ci_u32_e32 v4, vcc_lo, v6, v4, vcc_lo
	s_waitcnt lgkmcnt(0)
	v_mul_lo_u32 v6, s1, v5
	v_mul_lo_u32 v4, s0, v4
	v_mad_u64_u32 v[1:2], null, s0, v5, v[1:2]
	v_cmp_ge_u64_e64 s0, s[16:17], s[10:11]
	s_and_b32 vcc_lo, exec_lo, s0
	v_add3_u32 v2, v6, v2, v4
	s_cbranch_vccnz .LBB0_9
; %bb.7:                                ;   in Loop: Header=BB0_2 Depth=1
	v_mov_b32_e32 v5, v7
	v_mov_b32_e32 v6, v8
	s_branch .LBB0_2
.LBB0_8:
	v_mov_b32_e32 v8, v6
	v_mov_b32_e32 v7, v5
.LBB0_9:
	s_lshl_b64 s[0:1], s[10:11], 3
	v_mul_hi_u32 v3, 0x4924925, v0
	s_add_u32 s0, s12, s0
	s_addc_u32 s1, s13, s1
	s_load_dwordx2 s[4:5], s[4:5], 0x20
	s_load_dwordx2 s[0:1], s[0:1], 0x0
                                        ; implicit-def: $vgpr50
	v_mul_u32_u24_e32 v3, 56, v3
	v_sub_nc_u32_e32 v36, v0, v3
	v_add_nc_u32_e32 v38, 56, v36
	v_add_nc_u32_e32 v53, 0x70, v36
	;; [unrolled: 1-line block ×5, first 2 shown]
	s_waitcnt lgkmcnt(0)
	v_cmp_gt_u64_e32 vcc_lo, s[4:5], v[7:8]
	v_mul_lo_u32 v3, s0, v8
	v_mul_lo_u32 v4, s1, v7
	v_mad_u64_u32 v[0:1], null, s0, v7, v[1:2]
	v_cmp_le_u64_e64 s0, s[4:5], v[7:8]
	v_add_nc_u32_e32 v47, 0x150, v36
	v_add_nc_u32_e32 v46, 0x188, v36
	v_or_b32_e32 v40, 0x1c0, v36
	v_add3_u32 v1, v4, v1, v3
	s_and_saveexec_b32 s1, s0
	s_xor_b32 s0, exec_lo, s1
; %bb.10:
	v_add_nc_u32_e32 v38, 56, v36
	v_add_nc_u32_e32 v53, 0x70, v36
	;; [unrolled: 1-line block ×7, first 2 shown]
	v_or_b32_e32 v50, 0x1c0, v36
; %bb.11:
	s_or_saveexec_b32 s1, s0
	v_lshlrev_b64 v[44:45], 3, v[0:1]
	v_or_b32_e32 v42, 0x380, v36
	s_xor_b32 exec_lo, exec_lo, s1
	s_cbranch_execz .LBB0_13
; %bb.12:
	v_mov_b32_e32 v37, 0
	v_add_co_u32 v30, s0, s2, v44
	v_add_co_ci_u32_e64 v31, s0, s3, v45, s0
	v_lshlrev_b64 v[0:1], 3, v[36:37]
	v_mov_b32_e32 v41, v37
	v_mov_b32_e32 v43, v37
	v_lshl_add_u32 v37, v36, 3, 0
	v_mov_b32_e32 v50, v40
	v_lshlrev_b64 v[2:3], 3, v[40:41]
	v_add_co_u32 v0, s0, v30, v0
	v_add_co_ci_u32_e64 v1, s0, v31, v1, s0
	v_lshlrev_b64 v[28:29], 3, v[42:43]
	v_add_co_u32 v12, s0, 0x800, v0
	v_add_co_ci_u32_e64 v13, s0, 0, v1, s0
	v_add_co_u32 v2, s0, v30, v2
	v_add_co_ci_u32_e64 v3, s0, v31, v3, s0
	;; [unrolled: 2-line block ×3, first 2 shown]
	s_clause 0x7
	global_load_dwordx2 v[4:5], v[0:1], off
	global_load_dwordx2 v[6:7], v[0:1], off offset:448
	global_load_dwordx2 v[8:9], v[0:1], off offset:896
	;; [unrolled: 1-line block ×7, first 2 shown]
	v_add_co_u32 v0, s0, 0x1800, v0
	v_add_co_ci_u32_e64 v1, s0, 0, v1, s0
	v_add_co_u32 v28, s0, v30, v28
	v_add_co_ci_u32_e64 v29, s0, v31, v29, s0
	s_clause 0x9
	global_load_dwordx2 v[24:25], v[14:15], off offset:384
	global_load_dwordx2 v[26:27], v[14:15], off offset:832
	global_load_dwordx2 v[2:3], v[2:3], off
	global_load_dwordx2 v[12:13], v[12:13], off offset:1984
	global_load_dwordx2 v[30:31], v[14:15], off offset:1280
	;; [unrolled: 1-line block ×5, first 2 shown]
	global_load_dwordx2 v[28:29], v[28:29], off
	global_load_dwordx2 v[0:1], v[0:1], off offset:1472
	v_add_nc_u32_e32 v39, 0x400, v37
	v_add_nc_u32_e32 v41, 0x800, v37
	;; [unrolled: 1-line block ×4, first 2 shown]
	s_waitcnt vmcnt(16)
	ds_write2_b64 v37, v[4:5], v[6:7] offset1:56
	s_waitcnt vmcnt(14)
	ds_write2_b64 v37, v[8:9], v[10:11] offset0:112 offset1:168
	s_waitcnt vmcnt(12)
	ds_write2_b64 v39, v[16:17], v[18:19] offset0:96 offset1:152
	;; [unrolled: 2-line block ×4, first 2 shown]
	ds_write2_b64 v43, v[24:25], v[26:27] offset0:48 offset1:104
	s_waitcnt vmcnt(4)
	ds_write2_b64 v43, v[30:31], v[14:15] offset0:160 offset1:216
	s_waitcnt vmcnt(2)
	ds_write2_b64 v49, v[32:33], v[34:35] offset0:16 offset1:72
	s_waitcnt vmcnt(0)
	ds_write2_b64 v49, v[28:29], v[0:1] offset0:128 offset1:184
.LBB0_13:
	s_or_b32 exec_lo, exec_lo, s1
	v_lshlrev_b32_e32 v37, 3, v36
	s_waitcnt lgkmcnt(0)
	s_barrier
	buffer_gl0_inv
	v_lshl_add_u32 v75, v53, 4, 0
	v_add_nc_u32_e32 v43, 0, v37
	v_lshl_add_u32 v66, v52, 4, 0
	v_lshl_add_u32 v65, v51, 4, 0
	;; [unrolled: 1-line block ×4, first 2 shown]
	v_add_nc_u32_e32 v72, 0x800, v43
	v_add_nc_u32_e32 v73, 0x1000, v43
	v_add_nc_u32_e32 v12, 0x400, v43
	v_add_nc_u32_e32 v74, 0x1800, v43
	ds_read2_b64 v[0:3], v43 offset1:56
	ds_read2_b64 v[4:7], v72 offset0:192 offset1:248
	ds_read2_b64 v[8:11], v73 offset0:48 offset1:104
	;; [unrolled: 1-line block ×8, first 2 shown]
	v_add_nc_u32_e32 v33, v43, v37
	s_waitcnt lgkmcnt(0)
	s_barrier
	buffer_gl0_inv
	v_lshl_add_u32 v41, v46, 4, 0
	v_lshl_add_u32 v64, v50, 4, 0
	v_lshlrev_b32_e32 v76, 3, v53
	v_lshlrev_b32_e32 v39, 3, v52
	v_lshl_add_u32 v67, v38, 3, 0
	v_lshlrev_b32_e32 v49, 3, v51
	v_lshlrev_b32_e32 v71, 3, v50
	;; [unrolled: 1-line block ×5, first 2 shown]
	v_and_b32_e32 v89, 3, v36
	v_sub_f32_e32 v6, v0, v6
	v_sub_f32_e32 v7, v1, v7
	;; [unrolled: 1-line block ×5, first 2 shown]
	v_fma_f32 v0, v0, 2.0, -v6
	v_fma_f32 v1, v1, 2.0, -v7
	v_sub_f32_e32 v11, v14, v11
	v_sub_f32_e32 v17, v15, v17
	;; [unrolled: 1-line block ×7, first 2 shown]
	v_fma_f32 v2, v2, 2.0, -v8
	v_fma_f32 v3, v3, 2.0, -v9
	ds_write2_b64 v33, v[0:1], v[6:7] offset1:1
	v_lshl_add_u32 v33, v38, 4, 0
	v_fma_f32 v13, v13, 2.0, -v10
	v_fma_f32 v14, v14, 2.0, -v11
	v_sub_f32_e32 v0, v29, v27
	v_sub_f32_e32 v1, v30, v28
	v_fma_f32 v15, v15, 2.0, -v17
	v_fma_f32 v16, v16, 2.0, -v18
	v_sub_f32_e32 v6, v31, v54
	v_sub_f32_e32 v7, v32, v55
	v_fma_f32 v21, v21, 2.0, -v19
	v_fma_f32 v22, v22, 2.0, -v20
	;; [unrolled: 1-line block ×4, first 2 shown]
	v_sub_f32_e32 v27, v4, v56
	v_sub_f32_e32 v28, v5, v57
	ds_write2_b64 v33, v[2:3], v[8:9] offset1:1
	ds_write2_b64 v75, v[13:14], v[10:11] offset1:1
	;; [unrolled: 1-line block ×4, first 2 shown]
	v_and_b32_e32 v11, 1, v36
	v_fma_f32 v29, v29, 2.0, -v0
	v_fma_f32 v30, v30, 2.0, -v1
	;; [unrolled: 1-line block ×6, first 2 shown]
	ds_write2_b64 v63, v[23:24], v[25:26] offset1:1
	ds_write2_b64 v62, v[29:30], v[0:1] offset1:1
	;; [unrolled: 1-line block ×3, first 2 shown]
	v_lshlrev_b32_e32 v0, 3, v11
	v_lshlrev_b32_e32 v1, 1, v38
	;; [unrolled: 1-line block ×3, first 2 shown]
	ds_write2_b64 v64, v[4:5], v[27:28] offset1:1
	s_waitcnt lgkmcnt(0)
	s_barrier
	buffer_gl0_inv
	global_load_dwordx2 v[54:55], v0, s[8:9]
	v_lshlrev_b32_e32 v0, 1, v36
	v_lshlrev_b32_e32 v3, 1, v52
	v_and_or_b32 v28, 0xfc, v1, v11
	v_and_or_b32 v29, 0x1fc, v2, v11
	v_add_nc_u32_e32 v13, 0xc00, v43
	v_and_or_b32 v19, 0x7c, v0, v11
	v_and_or_b32 v30, 0x1fc, v3, v11
	ds_read2_b64 v[24:27], v73 offset0:104 offset1:160
	v_lshl_add_u32 v92, v28, 3, 0
	ds_read2_b64 v[20:23], v13 offset0:120 offset1:176
	v_lshl_add_u32 v91, v19, 3, 0
	v_add_nc_u32_e32 v19, 0x1400, v43
	v_lshl_add_u32 v93, v29, 3, 0
	v_lshl_add_u32 v94, v30, 3, 0
	v_lshlrev_b32_e32 v4, 1, v51
	v_lshlrev_b32_e32 v5, 1, v48
	ds_read2_b64 v[28:31], v19 offset0:88 offset1:144
	v_lshlrev_b32_e32 v6, 1, v47
	v_lshlrev_b32_e32 v7, 1, v46
	v_and_or_b32 v32, 0x3fc, v4, v11
	v_and_or_b32 v33, 0x2fc, v5, v11
	v_sub_nc_u32_e32 v18, v75, v76
	v_and_or_b32 v34, 0x3fc, v6, v11
	v_and_or_b32 v35, 0x3fc, v7, v11
	v_sub_nc_u32_e32 v16, v66, v39
	v_lshl_add_u32 v95, v32, 3, 0
	v_lshl_add_u32 v96, v33, 3, 0
	;; [unrolled: 1-line block ×4, first 2 shown]
	ds_read2_b64 v[32:35], v74 offset0:128 offset1:184
	ds_read_b64 v[56:57], v43
	ds_read_b64 v[58:59], v67
	;; [unrolled: 1-line block ×4, first 2 shown]
	ds_read2_b32 v[79:80], v74 offset0:144 offset1:145
	v_sub_nc_u32_e32 v14, v65, v49
	v_sub_nc_u32_e32 v10, v64, v71
	;; [unrolled: 1-line block ×5, first 2 shown]
	v_lshlrev_b32_e32 v8, 1, v50
	v_lshlrev_b32_e32 v90, 3, v89
	v_cmp_gt_u32_e64 s0, 48, v36
	v_and_or_b32 v11, 0x3fc, v8, v11
	v_lshl_add_u32 v11, v11, 3, 0
	s_waitcnt vmcnt(0) lgkmcnt(7)
	v_mul_f32_e32 v81, v55, v21
	v_mul_f32_e32 v82, v55, v20
	;; [unrolled: 1-line block ×8, first 2 shown]
	s_waitcnt lgkmcnt(6)
	v_mul_f32_e32 v99, v55, v29
	v_mul_f32_e32 v100, v55, v28
	v_fmac_f32_e32 v81, v54, v20
	v_fma_f32 v82, v54, v21, -v82
	v_fmac_f32_e32 v83, v54, v22
	v_fma_f32 v84, v54, v23, -v84
	;; [unrolled: 2-line block ×5, first 2 shown]
	ds_read_b64 v[20:21], v14
	ds_read_b64 v[22:23], v15
	;; [unrolled: 1-line block ×5, first 2 shown]
	v_mul_f32_e32 v101, v55, v31
	v_mul_f32_e32 v102, v55, v30
	s_waitcnt lgkmcnt(10)
	v_mul_f32_e32 v103, v33, v55
	v_mul_f32_e32 v104, v32, v55
	v_mul_f32_e32 v105, v35, v55
	v_mul_f32_e32 v106, v34, v55
	v_fmac_f32_e32 v101, v54, v30
	s_waitcnt lgkmcnt(5)
	v_mul_f32_e32 v107, v80, v55
	v_mul_f32_e32 v30, v55, v79
	v_fma_f32 v102, v54, v31, -v102
	v_fmac_f32_e32 v103, v32, v54
	v_fma_f32 v104, v33, v54, -v104
	v_fmac_f32_e32 v105, v34, v54
	;; [unrolled: 2-line block ×3, first 2 shown]
	v_fma_f32 v108, v80, v54, -v30
	v_sub_f32_e32 v30, v56, v81
	v_sub_f32_e32 v31, v57, v82
	;; [unrolled: 1-line block ×8, first 2 shown]
	s_waitcnt lgkmcnt(4)
	v_sub_f32_e32 v79, v20, v99
	v_sub_f32_e32 v80, v21, v100
	s_waitcnt lgkmcnt(3)
	v_sub_f32_e32 v81, v22, v101
	v_sub_f32_e32 v82, v23, v102
	;; [unrolled: 3-line block ×5, first 2 shown]
	v_fma_f32 v56, v56, 2.0, -v30
	v_fma_f32 v57, v57, 2.0, -v31
	;; [unrolled: 1-line block ×10, first 2 shown]
	s_barrier
	buffer_gl0_inv
	v_fma_f32 v22, v22, 2.0, -v81
	v_fma_f32 v23, v23, 2.0, -v82
	v_fma_f32 v24, v24, 2.0, -v83
	v_fma_f32 v25, v25, 2.0, -v84
	v_fma_f32 v26, v26, 2.0, -v85
	v_fma_f32 v27, v27, 2.0, -v86
	v_fma_f32 v28, v28, 2.0, -v87
	v_fma_f32 v29, v29, 2.0, -v88
	ds_write2_b64 v91, v[56:57], v[30:31] offset1:2
	ds_write2_b64 v92, v[58:59], v[32:33] offset1:2
	;; [unrolled: 1-line block ×9, first 2 shown]
	s_waitcnt lgkmcnt(0)
	s_barrier
	buffer_gl0_inv
	global_load_dwordx2 v[54:55], v90, s[8:9] offset:16
	v_and_or_b32 v28, 0x78, v0, v89
	v_and_or_b32 v29, 0xf8, v1, v89
	;; [unrolled: 1-line block ×3, first 2 shown]
	ds_read2_b64 v[20:23], v13 offset0:120 offset1:176
	ds_read2_b64 v[24:27], v73 offset0:104 offset1:160
	v_lshl_add_u32 v90, v28, 3, 0
	v_lshl_add_u32 v91, v29, 3, 0
	v_lshl_add_u32 v92, v30, 3, 0
	ds_read2_b64 v[28:31], v19 offset0:88 offset1:144
	v_and_or_b32 v32, 0x1f8, v3, v89
	v_and_or_b32 v33, 0x3f8, v4, v89
	;; [unrolled: 1-line block ×5, first 2 shown]
	v_lshl_add_u32 v93, v32, 3, 0
	v_lshl_add_u32 v94, v33, 3, 0
	;; [unrolled: 1-line block ×3, first 2 shown]
	ds_read2_b64 v[32:35], v74 offset0:72 offset1:128
	v_and_or_b32 v58, 0x3f8, v8, v89
	v_lshl_add_u32 v96, v56, 3, 0
	v_lshl_add_u32 v97, v57, 3, 0
	v_and_b32_e32 v11, 7, v36
	v_lshl_add_u32 v98, v58, 3, 0
	ds_read_b64 v[56:57], v43
	ds_read_b64 v[58:59], v43 offset:7616
	ds_read_b64 v[60:61], v18
	ds_read_b64 v[77:78], v67
	v_lshlrev_b32_e32 v89, 3, v11
	v_and_or_b32 v0, 0x70, v0, v11
	v_and_or_b32 v1, 0xf0, v1, v11
	;; [unrolled: 1-line block ×9, first 2 shown]
	s_waitcnt vmcnt(0) lgkmcnt(7)
	v_mul_f32_e32 v79, v55, v21
	v_mul_f32_e32 v80, v55, v20
	;; [unrolled: 1-line block ×4, first 2 shown]
	s_waitcnt lgkmcnt(6)
	v_mul_f32_e32 v83, v55, v25
	v_mul_f32_e32 v84, v55, v24
	;; [unrolled: 1-line block ×4, first 2 shown]
	s_waitcnt lgkmcnt(5)
	v_mul_f32_e32 v87, v55, v29
	v_mul_f32_e32 v88, v55, v28
	;; [unrolled: 1-line block ×4, first 2 shown]
	v_fmac_f32_e32 v79, v54, v20
	v_fma_f32 v80, v54, v21, -v80
	v_fmac_f32_e32 v81, v54, v22
	v_fma_f32 v82, v54, v23, -v82
	v_fmac_f32_e32 v83, v54, v24
	v_fma_f32 v84, v54, v25, -v84
	v_fmac_f32_e32 v85, v54, v26
	v_fma_f32 v86, v54, v27, -v86
	ds_read_b64 v[20:21], v16
	ds_read_b64 v[22:23], v14
	;; [unrolled: 1-line block ×4, first 2 shown]
	v_fmac_f32_e32 v87, v54, v28
	v_fma_f32 v88, v54, v29, -v88
	v_fmac_f32_e32 v99, v54, v30
	v_fma_f32 v100, v54, v31, -v100
	ds_read_b64 v[28:29], v9
	ds_read_b64 v[30:31], v10
	s_waitcnt lgkmcnt(10)
	v_mul_f32_e32 v101, v55, v33
	v_mul_f32_e32 v102, v55, v32
	;; [unrolled: 1-line block ×4, first 2 shown]
	s_waitcnt lgkmcnt(8)
	v_mul_f32_e32 v105, v59, v55
	v_fmac_f32_e32 v101, v54, v32
	v_mul_f32_e32 v32, v58, v55
	v_fma_f32 v102, v54, v33, -v102
	v_fmac_f32_e32 v103, v34, v54
	v_fma_f32 v104, v35, v54, -v104
	v_fmac_f32_e32 v105, v58, v54
	v_fma_f32 v106, v59, v54, -v32
	v_sub_f32_e32 v32, v56, v79
	v_sub_f32_e32 v33, v57, v80
	s_waitcnt lgkmcnt(6)
	v_sub_f32_e32 v34, v77, v81
	v_sub_f32_e32 v35, v78, v82
	;; [unrolled: 1-line block ×4, first 2 shown]
	s_waitcnt lgkmcnt(5)
	v_sub_f32_e32 v58, v20, v85
	v_sub_f32_e32 v59, v21, v86
	s_waitcnt lgkmcnt(4)
	v_sub_f32_e32 v79, v22, v87
	v_sub_f32_e32 v80, v23, v88
	;; [unrolled: 3-line block ×3, first 2 shown]
	v_sub_f32_e32 v81, v24, v99
	v_sub_f32_e32 v82, v25, v100
	s_waitcnt lgkmcnt(1)
	v_sub_f32_e32 v85, v28, v103
	v_sub_f32_e32 v86, v29, v104
	s_waitcnt lgkmcnt(0)
	v_sub_f32_e32 v87, v30, v105
	v_sub_f32_e32 v88, v31, v106
	v_fma_f32 v56, v56, 2.0, -v32
	v_fma_f32 v57, v57, 2.0, -v33
	;; [unrolled: 1-line block ×12, first 2 shown]
	s_barrier
	buffer_gl0_inv
	v_fma_f32 v24, v24, 2.0, -v81
	v_fma_f32 v25, v25, 2.0, -v82
	;; [unrolled: 1-line block ×6, first 2 shown]
	ds_write2_b64 v90, v[56:57], v[32:33] offset1:4
	ds_write2_b64 v91, v[77:78], v[34:35] offset1:4
	;; [unrolled: 1-line block ×9, first 2 shown]
	s_waitcnt lgkmcnt(0)
	s_barrier
	buffer_gl0_inv
	global_load_dwordx2 v[26:27], v89, s[8:9] offset:48
	v_lshl_add_u32 v82, v0, 3, 0
	v_lshl_add_u32 v83, v1, 3, 0
	;; [unrolled: 1-line block ×4, first 2 shown]
	ds_read2_b64 v[0:3], v13 offset0:120 offset1:176
	v_lshl_add_u32 v86, v4, 3, 0
	v_lshl_add_u32 v87, v5, 3, 0
	;; [unrolled: 1-line block ×5, first 2 shown]
	ds_read2_b64 v[4:7], v73 offset0:104 offset1:160
	ds_read_b64 v[28:29], v43
	ds_read_b64 v[30:31], v43 offset:7616
	ds_read2_b64 v[22:25], v19 offset0:88 offset1:144
	ds_read_b64 v[32:33], v9
	ds_read_b64 v[34:35], v10
	;; [unrolled: 1-line block ×8, first 2 shown]
	ds_read2_b64 v[8:11], v74 offset0:72 offset1:128
	v_and_b32_e32 v20, 15, v38
	v_and_b32_e32 v21, 15, v36
	s_waitcnt vmcnt(0) lgkmcnt(0)
	s_barrier
	buffer_gl0_inv
	v_lshlrev_b32_e32 v81, 4, v20
	v_mul_f32_e32 v91, v27, v1
	v_mul_f32_e32 v92, v27, v0
	;; [unrolled: 1-line block ×12, first 2 shown]
	v_fmac_f32_e32 v91, v26, v0
	v_fma_f32 v1, v26, v1, -v92
	v_fmac_f32_e32 v93, v26, v2
	v_fma_f32 v3, v26, v3, -v94
	v_mul_f32_e32 v92, v27, v9
	v_mul_f32_e32 v0, v27, v8
	;; [unrolled: 1-line block ×4, first 2 shown]
	v_fmac_f32_e32 v95, v26, v4
	v_fma_f32 v5, v26, v5, -v96
	v_mul_f32_e32 v96, v31, v27
	v_mul_f32_e32 v4, v30, v27
	v_fmac_f32_e32 v97, v26, v6
	v_fma_f32 v7, v26, v7, -v98
	v_fmac_f32_e32 v99, v26, v22
	v_fma_f32 v22, v26, v23, -v100
	;; [unrolled: 2-line block ×6, first 2 shown]
	v_sub_f32_e32 v0, v28, v91
	v_sub_f32_e32 v1, v29, v1
	;; [unrolled: 1-line block ×18, first 2 shown]
	v_fma_f32 v28, v28, 2.0, -v0
	v_fma_f32 v29, v29, 2.0, -v1
	;; [unrolled: 1-line block ×18, first 2 shown]
	ds_write2_b64 v82, v[28:29], v[0:1] offset1:8
	ds_write2_b64 v83, v[30:31], v[2:3] offset1:8
	;; [unrolled: 1-line block ×9, first 2 shown]
	v_and_b32_e32 v26, 15, v52
	s_waitcnt lgkmcnt(0)
	s_barrier
	buffer_gl0_inv
	global_load_dwordx4 v[4:7], v81, s[8:9] offset:112
	v_lshlrev_b32_e32 v0, 4, v21
	v_lshlrev_b32_e32 v1, 4, v26
	s_clause 0x1
	global_load_dwordx4 v[8:11], v0, s[8:9] offset:112
	global_load_dwordx4 v[22:25], v1, s[8:9] offset:112
	v_and_b32_e32 v27, 15, v48
	v_lshrrev_b32_e32 v28, 4, v36
	v_and_b32_e32 v34, 0xff, v38
	v_and_b32_e32 v35, 0xff, v53
	v_lshrrev_b32_e32 v29, 4, v38
	v_lshlrev_b32_e32 v0, 4, v27
	v_lshrrev_b32_e32 v30, 4, v53
	v_lshrrev_b32_e32 v31, 4, v52
	;; [unrolled: 1-line block ×4, first 2 shown]
	global_load_dwordx4 v[0:3], v0, s[8:9] offset:112
	v_mul_u32_u24_e32 v28, 48, v28
	v_mul_lo_u16 v34, 0xab, v34
	v_mul_lo_u16 v35, 0xab, v35
	v_mul_lo_u32 v29, v29, 48
	v_mul_lo_u32 v30, v30, 48
	;; [unrolled: 1-line block ×5, first 2 shown]
	v_and_b32_e32 v54, 0xff, v52
	v_or_b32_e32 v28, v28, v21
	v_lshrrev_b16 v90, 13, v34
	v_lshrrev_b16 v91, 13, v35
	ds_read_b64 v[34:35], v43 offset:3136
	v_mul_lo_u16 v89, 0xab, v54
	v_or_b32_e32 v20, v29, v20
	v_or_b32_e32 v30, v30, v21
	;; [unrolled: 1-line block ×5, first 2 shown]
	v_lshl_add_u32 v92, v28, 3, 0
	v_mul_lo_u16 v33, v90, 48
	ds_read2_b64 v[26:29], v19 offset0:88 offset1:144
	v_mul_lo_u16 v54, v91, 48
	v_lshl_add_u32 v93, v20, 3, 0
	v_lshl_add_u32 v94, v30, 3, 0
	;; [unrolled: 1-line block ×3, first 2 shown]
	v_sub_nc_u16 v20, v38, v33
	v_lshl_add_u32 v96, v21, 3, 0
	v_sub_nc_u16 v21, v53, v54
	v_lshl_add_u32 v97, v32, 3, 0
	ds_read2_b64 v[30:33], v13 offset0:120 offset1:176
	ds_read2_b64 v[54:57], v74 offset0:72 offset1:128
	ds_read_b64 v[77:78], v17
	ds_read_b64 v[79:80], v43 offset:7616
	ds_read_b64 v[81:82], v67
	ds_read_b64 v[83:84], v43
	ds_read2_b32 v[85:86], v13 offset0:128 offset1:129
	ds_read2_b64 v[58:61], v73 offset0:104 offset1:160
	v_mov_b32_e32 v88, 0xaaab
	v_mov_b32_e32 v87, 4
	v_lshlrev_b32_sdwa v98, v87, v20 dst_sel:DWORD dst_unused:UNUSED_PAD src0_sel:DWORD src1_sel:BYTE_0
	v_lshlrev_b32_sdwa v99, v87, v21 dst_sel:DWORD dst_unused:UNUSED_PAD src0_sel:DWORD src1_sel:BYTE_0
	s_waitcnt vmcnt(3) lgkmcnt(9)
	v_mul_f32_e32 v100, v5, v35
	v_mul_f32_e32 v5, v5, v34
	s_waitcnt lgkmcnt(8)
	v_mul_f32_e32 v101, v7, v27
	v_mul_f32_e32 v7, v7, v26
	v_fmac_f32_e32 v100, v4, v34
	v_fma_f32 v34, v4, v35, -v5
	s_waitcnt vmcnt(2)
	v_mul_f32_e32 v35, v29, v11
	v_mul_f32_e32 v4, v28, v11
	v_fmac_f32_e32 v101, v6, v26
	v_fma_f32 v26, v6, v27, -v7
	s_waitcnt vmcnt(1) lgkmcnt(7)
	v_mul_f32_e32 v27, v31, v23
	v_mul_f32_e32 v5, v30, v23
	v_fmac_f32_e32 v35, v28, v10
	v_fma_f32 v28, v29, v10, -v4
	s_waitcnt lgkmcnt(6)
	v_mul_f32_e32 v4, v54, v25
	v_mul_f32_e32 v102, v55, v25
	;; [unrolled: 1-line block ×5, first 2 shown]
	v_fmac_f32_e32 v27, v30, v22
	v_fma_f32 v30, v31, v22, -v5
	v_fma_f32 v31, v55, v24, -v4
	v_mul_f32_e32 v4, v56, v11
	s_waitcnt lgkmcnt(5)
	v_mul_f32_e32 v5, v9, v77
	v_fmac_f32_e32 v102, v54, v24
	v_fmac_f32_e32 v29, v32, v8
	v_fma_f32 v32, v33, v8, -v6
	v_fmac_f32_e32 v103, v56, v10
	v_fma_f32 v33, v57, v10, -v4
	v_fma_f32 v56, v8, v78, -v5
	ds_read_b64 v[4:5], v18
	ds_read_b64 v[6:7], v16
	;; [unrolled: 1-line block ×4, first 2 shown]
	v_mul_f32_e32 v54, v9, v78
	s_waitcnt lgkmcnt(5)
	v_mul_f32_e32 v55, v86, v9
	v_mul_f32_e32 v9, v9, v85
	s_waitcnt lgkmcnt(4)
	v_mul_f32_e32 v57, v11, v61
	v_sub_f32_e32 v105, v27, v102
	v_fmac_f32_e32 v54, v8, v77
	v_fmac_f32_e32 v55, v8, v85
	v_fma_f32 v8, v86, v8, -v9
	v_mul_f32_e32 v9, v11, v60
	s_waitcnt vmcnt(0)
	v_mul_f32_e32 v77, v59, v1
	v_fmac_f32_e32 v57, v10, v60
	v_mul_f32_e32 v1, v58, v1
	v_mul_f32_e32 v60, v80, v3
	;; [unrolled: 1-line block ×3, first 2 shown]
	v_fma_f32 v9, v10, v61, -v9
	v_fmac_f32_e32 v77, v58, v0
	v_fma_f32 v58, v59, v0, -v1
	v_fmac_f32_e32 v60, v79, v2
	v_fma_f32 v59, v80, v2, -v3
	v_add_f32_e32 v0, v84, v56
	v_add_f32_e32 v2, v83, v54
	;; [unrolled: 1-line block ×3, first 2 shown]
	v_sub_f32_e32 v61, v56, v9
	v_add_f32_e32 v56, v56, v9
	v_add_f32_e32 v78, v54, v57
	;; [unrolled: 1-line block ×4, first 2 shown]
	v_sub_f32_e32 v85, v100, v101
	s_waitcnt lgkmcnt(3)
	v_add_f32_e32 v11, v5, v8
	v_sub_f32_e32 v86, v8, v28
	v_add_f32_e32 v100, v8, v28
	v_add_f32_e32 v8, v4, v55
	;; [unrolled: 1-line block ×4, first 2 shown]
	s_waitcnt lgkmcnt(2)
	v_add_f32_e32 v104, v7, v30
	v_add_f32_e32 v2, v10, v101
	;; [unrolled: 1-line block ×3, first 2 shown]
	v_sub_f32_e32 v79, v34, v26
	v_add_f32_e32 v34, v34, v26
	v_sub_f32_e32 v54, v54, v57
	v_add_f32_e32 v57, v55, v35
	;; [unrolled: 2-line block ×4, first 2 shown]
	v_add_f32_e32 v9, v11, v28
	v_add_f32_e32 v8, v8, v35
	;; [unrolled: 1-line block ×3, first 2 shown]
	s_waitcnt lgkmcnt(1)
	v_add_f32_e32 v27, v23, v32
	v_add_f32_e32 v11, v104, v31
	;; [unrolled: 1-line block ×3, first 2 shown]
	v_sub_f32_e32 v102, v32, v33
	v_add_f32_e32 v30, v32, v33
	v_add_f32_e32 v31, v22, v29
	v_fma_f32 v83, -0.5, v78, v83
	v_add_f32_e32 v32, v29, v103
	v_fmac_f32_e32 v84, -0.5, v56
	v_add_f32_e32 v35, v58, v59
	v_add_f32_e32 v56, v77, v60
	v_fma_f32 v81, -0.5, v80, v81
	v_fmac_f32_e32 v82, -0.5, v34
	s_waitcnt lgkmcnt(0)
	v_add_f32_e32 v34, v24, v77
	v_fma_f32 v4, -0.5, v57, v4
	v_fmac_f32_e32 v5, -0.5, v100
	v_sub_f32_e32 v78, v29, v103
	v_add_f32_e32 v29, v25, v58
	v_sub_f32_e32 v80, v58, v59
	v_sub_f32_e32 v77, v77, v60
	v_fma_f32 v6, -0.5, v28, v6
	v_fmac_f32_e32 v7, -0.5, v26
	v_add_f32_e32 v26, v31, v103
	v_fma_f32 v22, -0.5, v32, v22
	v_fmac_f32_e32 v23, -0.5, v30
	v_fma_f32 v24, -0.5, v56, v24
	v_fmac_f32_e32 v25, -0.5, v35
	v_fmamk_f32 v30, v61, 0xbf5db3d7, v83
	v_fmamk_f32 v31, v54, 0x3f5db3d7, v84
	v_fmac_f32_e32 v83, 0x3f5db3d7, v61
	v_fmac_f32_e32 v84, 0xbf5db3d7, v54
	v_add_f32_e32 v27, v27, v33
	v_fmamk_f32 v32, v79, 0xbf5db3d7, v81
	v_fmamk_f32 v33, v85, 0x3f5db3d7, v82
	v_fmac_f32_e32 v81, 0x3f5db3d7, v79
	v_fmac_f32_e32 v82, 0xbf5db3d7, v85
	v_add_f32_e32 v28, v34, v60
	v_fmamk_f32 v34, v86, 0xbf5db3d7, v4
	v_fmamk_f32 v35, v55, 0x3f5db3d7, v5
	s_barrier
	buffer_gl0_inv
	v_add_f32_e32 v29, v29, v59
	v_fmac_f32_e32 v4, 0x3f5db3d7, v86
	v_fmac_f32_e32 v5, 0xbf5db3d7, v55
	v_fmamk_f32 v54, v101, 0xbf5db3d7, v6
	v_fmamk_f32 v55, v105, 0x3f5db3d7, v7
	v_fmac_f32_e32 v6, 0x3f5db3d7, v101
	v_fmac_f32_e32 v7, 0xbf5db3d7, v105
	v_fmamk_f32 v56, v102, 0xbf5db3d7, v22
	v_fmamk_f32 v57, v78, 0x3f5db3d7, v23
	v_fmac_f32_e32 v22, 0x3f5db3d7, v102
	v_fmac_f32_e32 v23, 0xbf5db3d7, v78
	v_fmamk_f32 v58, v80, 0xbf5db3d7, v24
	v_fmac_f32_e32 v24, 0x3f5db3d7, v80
	v_fmamk_f32 v59, v77, 0x3f5db3d7, v25
	v_fmac_f32_e32 v25, 0xbf5db3d7, v77
	ds_write2_b64 v92, v[0:1], v[30:31] offset1:16
	ds_write_b64 v92, v[83:84] offset:256
	ds_write2_b64 v93, v[2:3], v[32:33] offset1:16
	ds_write_b64 v93, v[81:82] offset:256
	;; [unrolled: 2-line block ×6, first 2 shown]
	v_mul_u32_u24_sdwa v8, v51, v88 dst_sel:DWORD dst_unused:UNUSED_PAD src0_sel:WORD_0 src1_sel:DWORD
	s_waitcnt lgkmcnt(0)
	s_barrier
	buffer_gl0_inv
	global_load_dwordx4 v[0:3], v98, s[8:9] offset:368
	v_lshrrev_b32_e32 v35, 21, v8
	v_subrev_nc_u32_e32 v8, 48, v36
	global_load_dwordx4 v[4:7], v99, s[8:9] offset:368
	v_lshrrev_b16 v34, 13, v89
	v_mov_b32_e32 v57, 0
	v_mul_lo_u16 v10, v35, 48
	v_cndmask_b32_e64 v54, v8, v36, s0
	v_mul_u32_u24_sdwa v8, v48, v88 dst_sel:DWORD dst_unused:UNUSED_PAD src0_sel:WORD_0 src1_sel:DWORD
	v_mul_lo_u16 v9, v34, 48
	v_mov_b32_e32 v77, 0x480
	v_sub_nc_u16 v81, v51, v10
	v_lshlrev_b32_e32 v56, 1, v54
	v_lshrrev_b32_e32 v82, 21, v8
	v_sub_nc_u16 v55, v52, v9
	v_lshlrev_b32_e32 v54, 3, v54
	v_lshlrev_b32_sdwa v22, v87, v81 dst_sel:DWORD dst_unused:UNUSED_PAD src0_sel:DWORD src1_sel:WORD_0
	v_lshlrev_b64 v[26:27], 3, v[56:57]
	v_mul_lo_u16 v28, v82, 48
	v_lshlrev_b32_sdwa v9, v87, v55 dst_sel:DWORD dst_unused:UNUSED_PAD src0_sel:DWORD src1_sel:BYTE_0
	v_mul_u32_u24_sdwa v84, v91, v77 dst_sel:DWORD dst_unused:UNUSED_PAD src0_sel:WORD_0 src1_sel:DWORD
	global_load_dwordx4 v[22:25], v22, s[8:9] offset:368
	v_mul_u32_u24_sdwa v34, v34, v77 dst_sel:DWORD dst_unused:UNUSED_PAD src0_sel:WORD_0 src1_sel:DWORD
	v_add_co_u32 v26, s0, s8, v26
	global_load_dwordx4 v[8:11], v9, s[8:9] offset:368
	v_add_co_ci_u32_e64 v27, s0, s9, v27, s0
	v_sub_nc_u16 v56, v48, v28
	v_cmp_lt_u32_e64 s0, 47, v36
	v_mov_b32_e32 v83, 3
	global_load_dwordx4 v[26:29], v[26:27], off offset:368
	v_lshlrev_b32_sdwa v30, v87, v56 dst_sel:DWORD dst_unused:UNUSED_PAD src0_sel:DWORD src1_sel:WORD_0
	v_cndmask_b32_e64 v58, 0, 0x480, s0
	v_lshlrev_b32_sdwa v20, v83, v20 dst_sel:DWORD dst_unused:UNUSED_PAD src0_sel:DWORD src1_sel:BYTE_0
	v_lshlrev_b32_sdwa v21, v83, v21 dst_sel:DWORD dst_unused:UNUSED_PAD src0_sel:DWORD src1_sel:BYTE_0
	v_lshlrev_b32_sdwa v81, v83, v81 dst_sel:DWORD dst_unused:UNUSED_PAD src0_sel:DWORD src1_sel:WORD_0
	global_load_dwordx4 v[30:33], v30, s[8:9] offset:368
	v_add3_u32 v93, 0, v58, v54
	v_mul_u32_u24_sdwa v54, v90, v77 dst_sel:DWORD dst_unused:UNUSED_PAD src0_sel:WORD_0 src1_sel:DWORD
	ds_read2_b64 v[58:61], v72 offset0:136 offset1:192
	ds_read2_b64 v[77:80], v19 offset0:88 offset1:144
	v_mul_u32_u24_e32 v19, 0x480, v35
	v_mul_u32_u24_e32 v35, 0x480, v82
	v_lshlrev_b32_sdwa v55, v83, v55 dst_sel:DWORD dst_unused:UNUSED_PAD src0_sel:DWORD src1_sel:BYTE_0
	v_lshlrev_b32_sdwa v56, v83, v56 dst_sel:DWORD dst_unused:UNUSED_PAD src0_sel:DWORD src1_sel:WORD_0
	v_add3_u32 v94, 0, v54, v20
	v_add3_u32 v95, 0, v84, v21
	;; [unrolled: 1-line block ×3, first 2 shown]
	ds_read2_b64 v[81:84], v13 offset0:120 offset1:176
	ds_read2_b64 v[85:88], v74 offset0:72 offset1:128
	;; [unrolled: 1-line block ×3, first 2 shown]
	ds_read_b64 v[18:19], v18
	ds_read_b64 v[20:21], v67
	v_add3_u32 v96, 0, v34, v55
	v_add3_u32 v56, 0, v35, v56
	v_cmp_gt_u32_e64 s0, 32, v36
	s_waitcnt vmcnt(5) lgkmcnt(6)
	v_mul_f32_e32 v98, v1, v59
	v_mul_f32_e32 v1, v1, v58
	s_waitcnt lgkmcnt(5)
	v_mul_f32_e32 v99, v3, v78
	v_mul_f32_e32 v3, v3, v77
	s_waitcnt vmcnt(4)
	v_mul_f32_e32 v100, v61, v5
	v_mul_f32_e32 v5, v60, v5
	v_fmac_f32_e32 v98, v0, v58
	v_fma_f32 v101, v0, v59, -v1
	v_fmac_f32_e32 v99, v2, v77
	v_fma_f32 v77, v2, v78, -v3
	ds_read_b64 v[2:3], v43 offset:7616
	ds_read_b64 v[34:35], v43
	v_mul_f32_e32 v78, v80, v7
	v_mul_f32_e32 v0, v79, v7
	v_fmac_f32_e32 v100, v60, v4
	v_fma_f32 v7, v61, v4, -v5
	ds_read_b64 v[58:59], v16
	ds_read_b64 v[4:5], v17
	v_fmac_f32_e32 v78, v79, v6
	v_fma_f32 v6, v80, v6, -v0
	ds_read_b64 v[0:1], v15
	ds_read_b64 v[54:55], v14
	v_add_f32_e32 v61, v98, v99
	v_sub_f32_e32 v79, v98, v99
	s_waitcnt vmcnt(3) lgkmcnt(10)
	v_mul_f32_e32 v15, v84, v23
	v_mul_f32_e32 v17, v83, v23
	s_waitcnt lgkmcnt(9)
	v_mul_f32_e32 v60, v88, v25
	s_waitcnt lgkmcnt(7)
	v_add_f32_e32 v80, v19, v7
	s_waitcnt vmcnt(2)
	v_mul_f32_e32 v14, v82, v9
	v_mul_f32_e32 v9, v81, v9
	;; [unrolled: 1-line block ×4, first 2 shown]
	v_fmac_f32_e32 v15, v83, v22
	v_fmac_f32_e32 v14, v81, v8
	v_fma_f32 v8, v82, v8, -v9
	v_fmac_f32_e32 v16, v85, v10
	v_fma_f32 v23, v86, v10, -v11
	v_mul_f32_e32 v9, v87, v25
	s_waitcnt vmcnt(1) lgkmcnt(2)
	v_mul_f32_e32 v10, v27, v5
	v_mul_f32_e32 v11, v27, v4
	v_fma_f32 v17, v84, v22, -v17
	v_mul_f32_e32 v22, v29, v92
	v_mul_f32_e32 v25, v29, v91
	s_waitcnt vmcnt(0)
	v_mul_f32_e32 v27, v90, v31
	v_mul_f32_e32 v29, v89, v31
	v_fmac_f32_e32 v60, v87, v24
	v_fma_f32 v24, v88, v24, -v9
	v_mul_f32_e32 v31, v3, v33
	v_mul_f32_e32 v9, v2, v33
	v_fmac_f32_e32 v10, v26, v4
	v_fma_f32 v4, v26, v5, -v11
	v_fmac_f32_e32 v22, v28, v91
	v_fma_f32 v5, v28, v92, -v25
	;; [unrolled: 2-line block ×4, first 2 shown]
	v_add_f32_e32 v2, v35, v4
	v_sub_f32_e32 v26, v4, v5
	v_add_f32_e32 v4, v4, v5
	v_add_f32_e32 v9, v34, v10
	;; [unrolled: 1-line block ×4, first 2 shown]
	v_sub_f32_e32 v29, v10, v22
	v_add_f32_e32 v10, v21, v101
	v_sub_f32_e32 v30, v101, v77
	v_add_f32_e32 v33, v20, v98
	;; [unrolled: 2-line block ×3, first 2 shown]
	v_add_f32_e32 v83, v100, v78
	v_add_f32_e32 v87, v8, v23
	;; [unrolled: 1-line block ×9, first 2 shown]
	s_waitcnt lgkmcnt(1)
	v_add_f32_e32 v22, v0, v27
	v_add_f32_e32 v106, v27, v31
	v_fma_f32 v34, -0.5, v28, v34
	v_fmac_f32_e32 v35, -0.5, v4
	s_waitcnt lgkmcnt(0)
	v_add_f32_e32 v91, v55, v17
	v_add_f32_e32 v104, v1, v11
	v_fma_f32 v20, -0.5, v61, v20
	v_fmac_f32_e32 v21, -0.5, v32
	v_add_f32_e32 v82, v18, v100
	v_sub_f32_e32 v84, v100, v78
	v_sub_f32_e32 v86, v8, v23
	v_add_f32_e32 v88, v58, v14
	v_sub_f32_e32 v90, v14, v16
	v_sub_f32_e32 v92, v17, v24
	v_add_f32_e32 v100, v54, v15
	v_sub_f32_e32 v102, v15, v60
	v_fma_f32 v18, -0.5, v83, v18
	v_fmac_f32_e32 v19, -0.5, v7
	v_fma_f32 v58, -0.5, v89, v58
	v_fmac_f32_e32 v59, -0.5, v87
	;; [unrolled: 2-line block ×3, first 2 shown]
	v_sub_f32_e32 v103, v11, v25
	v_sub_f32_e32 v107, v27, v31
	v_add_f32_e32 v15, v85, v23
	v_add_f32_e32 v4, v22, v31
	v_fma_f32 v0, -0.5, v106, v0
	v_fmac_f32_e32 v1, -0.5, v105
	v_fmamk_f32 v22, v26, 0xbf5db3d7, v34
	v_fmamk_f32 v23, v29, 0x3f5db3d7, v35
	v_fmac_f32_e32 v34, 0x3f5db3d7, v26
	v_fmac_f32_e32 v35, 0xbf5db3d7, v29
	v_add_f32_e32 v9, v10, v77
	v_add_f32_e32 v8, v33, v99
	;; [unrolled: 1-line block ×4, first 2 shown]
	v_fmamk_f32 v24, v30, 0xbf5db3d7, v20
	v_fmamk_f32 v25, v79, 0x3f5db3d7, v21
	v_fmac_f32_e32 v20, 0x3f5db3d7, v30
	v_fmac_f32_e32 v21, 0xbf5db3d7, v79
	v_add_f32_e32 v11, v80, v6
	v_add_f32_e32 v10, v82, v78
	v_add_f32_e32 v14, v88, v16
	v_add_f32_e32 v16, v100, v60
	v_fmamk_f32 v26, v81, 0xbf5db3d7, v18
	v_fmamk_f32 v27, v84, 0x3f5db3d7, v19
	v_fmac_f32_e32 v18, 0x3f5db3d7, v81
	v_fmac_f32_e32 v19, 0xbf5db3d7, v84
	v_fmamk_f32 v28, v86, 0xbf5db3d7, v58
	v_fmamk_f32 v29, v90, 0x3f5db3d7, v59
	v_fmac_f32_e32 v58, 0x3f5db3d7, v86
	v_fmac_f32_e32 v59, 0xbf5db3d7, v90
	v_fmamk_f32 v30, v92, 0xbf5db3d7, v54
	v_fmamk_f32 v31, v102, 0x3f5db3d7, v55
	s_barrier
	buffer_gl0_inv
	v_fmac_f32_e32 v54, 0x3f5db3d7, v92
	v_fmac_f32_e32 v55, 0xbf5db3d7, v102
	v_fmamk_f32 v6, v103, 0xbf5db3d7, v0
	v_fmac_f32_e32 v0, 0x3f5db3d7, v103
	v_fmamk_f32 v7, v107, 0x3f5db3d7, v1
	v_fmac_f32_e32 v1, 0xbf5db3d7, v107
	ds_write2_b64 v93, v[2:3], v[22:23] offset1:48
	ds_write_b64 v93, v[34:35] offset:768
	ds_write2_b64 v94, v[8:9], v[24:25] offset1:48
	ds_write_b64 v94, v[20:21] offset:768
	;; [unrolled: 2-line block ×6, first 2 shown]
	s_waitcnt lgkmcnt(0)
	s_barrier
	buffer_gl0_inv
	ds_read2_b64 v[24:27], v12 offset0:72 offset1:160
	ds_read2_b64 v[16:19], v13 offset0:104 offset1:192
	ds_read_b64 v[58:59], v67
	ds_read_b64 v[60:61], v43 offset:7360
	ds_read2_b64 v[12:15], v43 offset1:144
	ds_read2_b64 v[32:35], v72 offset0:88 offset1:176
	ds_read2_b64 v[28:31], v73 offset0:120 offset1:208
	;; [unrolled: 1-line block ×3, first 2 shown]
	v_sub_nc_u32_e32 v2, 0, v76
                                        ; implicit-def: $vgpr11
	v_add_nc_u32_e32 v75, v75, v2
	s_and_saveexec_b32 s1, s0
	s_cbranch_execz .LBB0_15
; %bb.14:
	ds_read_b64 v[54:55], v75
	ds_read2_b64 v[4:7], v72 offset1:144
	ds_read2_b64 v[0:3], v73 offset0:32 offset1:176
	ds_read2_b64 v[8:11], v74 offset0:64 offset1:208
.LBB0_15:
	s_or_b32 exec_lo, exec_lo, s1
	v_mul_u32_u24_e32 v56, 6, v36
	v_lshlrev_b32_e32 v74, 3, v56
	v_mul_i32_i24_e32 v56, 6, v38
	s_clause 0x1
	global_load_dwordx4 v[76:79], v74, s[8:9] offset:1136
	global_load_dwordx4 v[80:83], v74, s[8:9] offset:1152
	v_lshlrev_b64 v[56:57], 3, v[56:57]
	global_load_dwordx4 v[84:87], v74, s[8:9] offset:1168
	v_add_co_u32 v56, s1, s8, v56
	v_add_co_ci_u32_e64 v57, s1, s9, v57, s1
	s_clause 0x2
	global_load_dwordx4 v[88:91], v[56:57], off offset:1136
	global_load_dwordx4 v[92:95], v[56:57], off offset:1152
	;; [unrolled: 1-line block ×3, first 2 shown]
	s_waitcnt vmcnt(0) lgkmcnt(0)
	s_barrier
	buffer_gl0_inv
	v_add_nc_u32_e32 v56, 0x800, v67
	v_add_nc_u32_e32 v57, 0x1000, v67
	v_mul_f32_e32 v74, v77, v15
	v_mul_f32_e32 v77, v77, v14
	;; [unrolled: 1-line block ×12, first 2 shown]
	v_fmac_f32_e32 v74, v76, v14
	v_fma_f32 v14, v76, v15, -v77
	v_fmac_f32_e32 v100, v78, v26
	v_fma_f32 v15, v78, v27, -v79
	;; [unrolled: 2-line block ×6, first 2 shown]
	v_mul_f32_e32 v23, v89, v25
	v_mul_f32_e32 v27, v89, v24
	;; [unrolled: 1-line block ×12, first 2 shown]
	v_add_f32_e32 v82, v74, v104
	v_add_f32_e32 v83, v14, v22
	v_sub_f32_e32 v14, v14, v22
	v_add_f32_e32 v22, v100, v103
	v_add_f32_e32 v84, v15, v19
	v_sub_f32_e32 v85, v100, v103
	v_sub_f32_e32 v15, v15, v19
	v_add_f32_e32 v19, v101, v102
	v_add_f32_e32 v86, v26, v18
	v_sub_f32_e32 v87, v102, v101
	v_sub_f32_e32 v18, v18, v26
	v_fmac_f32_e32 v23, v88, v24
	v_fma_f32 v24, v88, v25, -v27
	v_fmac_f32_e32 v30, v90, v32
	v_fma_f32 v25, v90, v33, -v31
	;; [unrolled: 2-line block ×4, first 2 shown]
	v_sub_f32_e32 v74, v74, v104
	v_fmac_f32_e32 v34, v16, v92
	v_fma_f32 v16, v17, v92, -v35
	v_fmac_f32_e32 v76, v28, v94
	v_fma_f32 v17, v29, v94, -v77
	v_add_f32_e32 v26, v22, v82
	v_add_f32_e32 v27, v84, v83
	v_sub_f32_e32 v28, v22, v82
	v_sub_f32_e32 v29, v84, v83
	;; [unrolled: 1-line block ×5, first 2 shown]
	v_add_f32_e32 v60, v18, v15
	v_sub_f32_e32 v61, v87, v85
	v_sub_f32_e32 v77, v18, v15
	;; [unrolled: 1-line block ×3, first 2 shown]
	v_add_f32_e32 v82, v23, v80
	v_add_f32_e32 v83, v24, v21
	v_sub_f32_e32 v23, v23, v80
	v_sub_f32_e32 v21, v24, v21
	v_add_f32_e32 v24, v30, v78
	v_add_f32_e32 v80, v25, v20
	v_sub_f32_e32 v33, v86, v84
	v_add_f32_e32 v35, v87, v85
	v_sub_f32_e32 v18, v14, v18
	v_sub_f32_e32 v81, v85, v74
	;; [unrolled: 1-line block ×4, first 2 shown]
	v_add_f32_e32 v25, v34, v76
	v_add_f32_e32 v78, v16, v17
	v_sub_f32_e32 v34, v76, v34
	v_sub_f32_e32 v16, v17, v16
	v_add_f32_e32 v17, v19, v26
	v_add_f32_e32 v19, v86, v27
	;; [unrolled: 1-line block ×3, first 2 shown]
	v_mul_f32_e32 v27, 0x3f4a47b2, v31
	v_mul_f32_e32 v31, 0x3f4a47b2, v32
	;; [unrolled: 1-line block ×6, first 2 shown]
	v_add_f32_e32 v77, v24, v82
	v_add_f32_e32 v84, v80, v83
	v_sub_f32_e32 v79, v74, v87
	v_add_f32_e32 v26, v35, v74
	v_mul_f32_e32 v35, 0x3d64c772, v33
	v_mul_f32_e32 v74, 0xbf5ff5aa, v81
	v_sub_f32_e32 v85, v24, v82
	v_sub_f32_e32 v86, v80, v83
	;; [unrolled: 1-line block ×6, first 2 shown]
	v_add_f32_e32 v87, v34, v30
	v_add_f32_e32 v88, v16, v20
	v_sub_f32_e32 v89, v34, v30
	v_sub_f32_e32 v90, v16, v20
	;; [unrolled: 1-line block ×4, first 2 shown]
	v_add_f32_e32 v12, v12, v17
	v_add_f32_e32 v13, v13, v19
	v_fmamk_f32 v22, v22, 0x3d64c772, v27
	v_fmamk_f32 v33, v33, 0x3d64c772, v31
	v_fma_f32 v32, 0x3f3bfb3b, v28, -v32
	v_fma_f32 v27, 0xbf3bfb3b, v28, -v27
	;; [unrolled: 1-line block ×3, first 2 shown]
	v_fmamk_f32 v31, v18, 0xbeae86e6, v61
	v_fma_f32 v61, 0xbf5ff5aa, v15, -v61
	v_fma_f32 v76, 0x3eae86e6, v18, -v76
	v_add_f32_e32 v18, v25, v77
	v_add_f32_e32 v25, v78, v84
	v_sub_f32_e32 v34, v23, v34
	v_sub_f32_e32 v16, v21, v16
	v_fma_f32 v35, 0x3f3bfb3b, v29, -v35
	v_fmamk_f32 v29, v79, 0xbeae86e6, v60
	v_fma_f32 v60, 0xbf5ff5aa, v81, -v60
	v_fma_f32 v74, 0x3eae86e6, v79, -v74
	v_add_f32_e32 v23, v87, v23
	v_mul_f32_e32 v77, 0x3f4a47b2, v82
	v_mul_f32_e32 v78, 0x3f4a47b2, v83
	v_mul_f32_e32 v79, 0x3d64c772, v24
	v_mul_f32_e32 v81, 0x3d64c772, v80
	v_mul_f32_e32 v82, 0x3f08b237, v89
	v_mul_f32_e32 v83, 0x3f08b237, v90
	v_mul_f32_e32 v84, 0xbf5ff5aa, v30
	v_mul_f32_e32 v87, 0xbf5ff5aa, v20
	v_fmamk_f32 v17, v17, 0xbf955555, v12
	v_fmamk_f32 v19, v19, 0xbf955555, v13
	v_fmac_f32_e32 v31, 0xbee1c552, v14
	v_fmac_f32_e32 v61, 0xbee1c552, v14
	;; [unrolled: 1-line block ×3, first 2 shown]
	v_add_f32_e32 v14, v58, v18
	v_add_f32_e32 v15, v59, v25
	;; [unrolled: 1-line block ×3, first 2 shown]
	v_fmac_f32_e32 v29, 0xbee1c552, v26
	v_fmac_f32_e32 v60, 0xbee1c552, v26
	;; [unrolled: 1-line block ×3, first 2 shown]
	v_fmamk_f32 v58, v24, 0x3d64c772, v77
	v_fmamk_f32 v59, v80, 0x3d64c772, v78
	v_fma_f32 v79, 0x3f3bfb3b, v85, -v79
	v_fma_f32 v80, 0x3f3bfb3b, v86, -v81
	;; [unrolled: 1-line block ×3, first 2 shown]
	v_fmamk_f32 v81, v34, 0xbeae86e6, v82
	v_fmamk_f32 v85, v16, 0xbeae86e6, v83
	v_fma_f32 v30, 0xbf5ff5aa, v30, -v82
	v_fma_f32 v82, 0xbf5ff5aa, v20, -v83
	;; [unrolled: 1-line block ×4, first 2 shown]
	v_add_f32_e32 v26, v22, v17
	v_add_f32_e32 v33, v33, v19
	v_add_f32_e32 v22, v32, v17
	v_add_f32_e32 v24, v35, v19
	v_add_f32_e32 v27, v27, v17
	v_add_f32_e32 v28, v28, v19
	v_fmamk_f32 v32, v18, 0xbf955555, v14
	v_fmamk_f32 v35, v25, 0xbf955555, v15
	v_fma_f32 v78, 0xbf3bfb3b, v86, -v78
	v_fmac_f32_e32 v81, 0xbee1c552, v23
	v_fmac_f32_e32 v85, 0xbee1c552, v21
	;; [unrolled: 1-line block ×6, first 2 shown]
	v_add_f32_e32 v16, v31, v26
	v_sub_f32_e32 v17, v33, v29
	v_add_f32_e32 v18, v76, v27
	v_sub_f32_e32 v19, v28, v74
	;; [unrolled: 2-line block ×3, first 2 shown]
	v_sub_f32_e32 v24, v27, v76
	v_add_f32_e32 v25, v74, v28
	v_add_f32_e32 v27, v29, v33
	;; [unrolled: 1-line block ×4, first 2 shown]
	v_sub_f32_e32 v20, v22, v61
	v_sub_f32_e32 v26, v26, v31
	v_add_f32_e32 v31, v79, v32
	v_add_f32_e32 v33, v80, v35
	;; [unrolled: 1-line block ×5, first 2 shown]
	ds_write2_b64 v43, v[12:13], v[16:17] offset1:144
	ds_write2_b64 v72, v[18:19], v[20:21] offset0:32 offset1:176
	ds_write2_b64 v73, v[22:23], v[24:25] offset0:64 offset1:208
	v_add_f32_e32 v12, v85, v28
	v_sub_f32_e32 v13, v29, v81
	v_add_f32_e32 v16, v83, v32
	v_sub_f32_e32 v17, v35, v34
	v_sub_f32_e32 v18, v31, v82
	v_add_f32_e32 v19, v30, v33
	v_add_f32_e32 v20, v82, v31
	v_sub_f32_e32 v21, v33, v30
	v_sub_f32_e32 v22, v32, v83
	v_add_f32_e32 v23, v34, v35
	v_sub_f32_e32 v24, v28, v85
	v_add_f32_e32 v25, v81, v29
	ds_write_b64 v43, v[26:27] offset:6912
	ds_write2_b64 v67, v[14:15], v[12:13] offset1:144
	ds_write2_b64 v56, v[16:17], v[18:19] offset0:32 offset1:176
	ds_write2_b64 v57, v[20:21], v[22:23] offset0:64 offset1:208
	ds_write_b64 v67, v[24:25] offset:6912
	s_and_saveexec_b32 s1, s0
	s_cbranch_execz .LBB0_17
; %bb.16:
	v_subrev_nc_u32_e32 v12, 32, v36
	v_mov_b32_e32 v13, 0
	v_add_nc_u32_e32 v24, 0x200, v43
	v_add_nc_u32_e32 v25, 0xc00, v43
	v_add_nc_u32_e32 v26, 0x1400, v43
	v_cndmask_b32_e64 v12, v12, v53, s0
	v_mul_i32_i24_e32 v12, 6, v12
	v_lshlrev_b64 v[12:13], 3, v[12:13]
	v_add_co_u32 v20, s0, s8, v12
	v_add_co_ci_u32_e64 v21, s0, s9, v13, s0
	s_clause 0x2
	global_load_dwordx4 v[12:15], v[20:21], off offset:1136
	global_load_dwordx4 v[16:19], v[20:21], off offset:1168
	;; [unrolled: 1-line block ×3, first 2 shown]
	s_waitcnt vmcnt(2)
	v_mul_f32_e32 v27, v5, v13
	s_waitcnt vmcnt(1)
	v_mul_f32_e32 v28, v11, v19
	;; [unrolled: 2-line block ×3, first 2 shown]
	v_mul_f32_e32 v30, v1, v21
	v_mul_f32_e32 v31, v7, v15
	;; [unrolled: 1-line block ×9, first 2 shown]
	v_fmac_f32_e32 v27, v4, v12
	v_fmac_f32_e32 v28, v10, v18
	;; [unrolled: 1-line block ×6, first 2 shown]
	v_fma_f32 v0, v11, v18, -v19
	v_fma_f32 v2, v5, v12, -v13
	;; [unrolled: 1-line block ×6, first 2 shown]
	v_add_f32_e32 v9, v2, v0
	v_add_f32_e32 v12, v27, v28
	;; [unrolled: 1-line block ×4, first 2 shown]
	v_sub_f32_e32 v6, v27, v28
	v_sub_f32_e32 v7, v29, v30
	;; [unrolled: 1-line block ×3, first 2 shown]
	v_add_f32_e32 v10, v1, v3
	v_add_f32_e32 v13, v30, v29
	v_sub_f32_e32 v0, v2, v0
	v_sub_f32_e32 v1, v3, v1
	;; [unrolled: 1-line block ×3, first 2 shown]
	v_add_f32_e32 v16, v11, v9
	v_add_f32_e32 v19, v14, v12
	v_sub_f32_e32 v3, v6, v7
	v_sub_f32_e32 v4, v7, v8
	v_add_f32_e32 v5, v7, v8
	v_sub_f32_e32 v7, v9, v10
	v_sub_f32_e32 v15, v10, v11
	;; [unrolled: 1-line block ×6, first 2 shown]
	v_add_f32_e32 v1, v1, v2
	v_sub_f32_e32 v8, v8, v6
	v_add_f32_e32 v10, v10, v16
	v_add_f32_e32 v13, v13, v19
	v_sub_f32_e32 v2, v2, v0
	v_sub_f32_e32 v9, v11, v9
	;; [unrolled: 1-line block ×3, first 2 shown]
	v_mul_f32_e32 v4, 0x3f08b237, v4
	v_add_f32_e32 v5, v5, v6
	v_mul_f32_e32 v6, 0x3f4a47b2, v7
	v_mul_f32_e32 v7, 0x3d64c772, v15
	;; [unrolled: 1-line block ×4, first 2 shown]
	v_add_f32_e32 v17, v1, v0
	v_mul_f32_e32 v19, 0xbf5ff5aa, v8
	v_add_f32_e32 v1, v55, v10
	v_add_f32_e32 v0, v54, v13
	v_mul_f32_e32 v14, 0x3d64c772, v18
	v_mul_f32_e32 v21, 0xbf5ff5aa, v2
	v_fmamk_f32 v22, v3, 0xbeae86e6, v4
	v_fmamk_f32 v15, v15, 0x3d64c772, v6
	;; [unrolled: 1-line block ×4, first 2 shown]
	v_fma_f32 v19, 0x3eae86e6, v3, -v19
	v_fma_f32 v3, 0xbf3bfb3b, v9, -v6
	;; [unrolled: 1-line block ×3, first 2 shown]
	v_fmamk_f32 v9, v10, 0xbf955555, v1
	v_fmamk_f32 v10, v13, 0xbf955555, v0
	v_fma_f32 v6, 0xbf3bfb3b, v11, -v12
	v_fma_f32 v20, 0x3eae86e6, v20, -v21
	v_fma_f32 v8, 0xbf5ff5aa, v8, -v4
	v_fma_f32 v2, 0xbf5ff5aa, v2, -v16
	v_fma_f32 v4, 0x3f3bfb3b, v11, -v14
	v_fmac_f32_e32 v22, 0xbee1c552, v5
	v_fmac_f32_e32 v23, 0xbee1c552, v17
	v_add_f32_e32 v12, v15, v9
	v_add_f32_e32 v14, v18, v10
	v_fmac_f32_e32 v19, 0xbee1c552, v5
	v_fmac_f32_e32 v20, 0xbee1c552, v17
	;; [unrolled: 1-line block ×4, first 2 shown]
	v_add_f32_e32 v11, v3, v9
	v_add_f32_e32 v6, v6, v10
	v_add_f32_e32 v9, v7, v9
	v_add_f32_e32 v15, v4, v10
	v_add_f32_e32 v3, v22, v12
	v_sub_f32_e32 v13, v12, v22
	v_add_f32_e32 v12, v23, v14
	v_add_f32_e32 v5, v19, v11
	v_sub_f32_e32 v7, v9, v8
	v_add_f32_e32 v9, v8, v9
	v_sub_f32_e32 v8, v15, v2
	v_sub_f32_e32 v11, v11, v19
	v_add_f32_e32 v10, v20, v6
	v_sub_f32_e32 v4, v6, v20
	v_add_f32_e32 v6, v2, v15
	v_sub_f32_e32 v2, v14, v23
	ds_write2_b64 v24, v[0:1], v[12:13] offset0:48 offset1:192
	ds_write2_b64 v25, v[10:11], v[8:9] offset0:16 offset1:160
	;; [unrolled: 1-line block ×3, first 2 shown]
	ds_write_b64 v43, v[2:3] offset:7808
.LBB0_17:
	s_or_b32 exec_lo, exec_lo, s1
	s_waitcnt lgkmcnt(0)
	s_barrier
	buffer_gl0_inv
	ds_read_b64 v[2:3], v43
	v_sub_nc_u32_e32 v4, 0, v37
	s_add_u32 s1, s8, 0x1f70
	s_addc_u32 s4, s9, 0
	s_mov_b32 s5, exec_lo
                                        ; implicit-def: $vgpr0
                                        ; implicit-def: $vgpr11
                                        ; implicit-def: $vgpr12
	v_cmpx_ne_u32_e32 0, v36
	s_xor_b32 s5, exec_lo, s5
	s_cbranch_execz .LBB0_19
; %bb.18:
	v_mov_b32_e32 v37, 0
	v_lshlrev_b64 v[0:1], 3, v[36:37]
	v_add_co_u32 v0, s0, s1, v0
	v_add_co_ci_u32_e64 v1, s0, s4, v1, s0
	global_load_dwordx2 v[5:6], v[0:1], off
	ds_read_b64 v[0:1], v4 offset:8064
	s_waitcnt lgkmcnt(0)
	v_sub_f32_e32 v7, v2, v0
	v_add_f32_e32 v8, v1, v3
	v_sub_f32_e32 v1, v3, v1
	v_add_f32_e32 v0, v0, v2
	v_mul_f32_e32 v3, 0.5, v7
	v_mul_f32_e32 v2, 0.5, v8
	;; [unrolled: 1-line block ×3, first 2 shown]
	s_waitcnt vmcnt(0)
	v_mul_f32_e32 v7, v6, v3
	v_fma_f32 v8, v2, v6, v1
	v_fma_f32 v1, v2, v6, -v1
	v_fma_f32 v11, 0.5, v0, v7
	v_fma_f32 v0, v0, 0.5, -v7
	v_fma_f32 v12, -v5, v3, v8
	v_fma_f32 v1, -v5, v3, v1
	v_fmac_f32_e32 v11, v5, v2
	v_fma_f32 v0, -v5, v2, v0
                                        ; implicit-def: $vgpr2_vgpr3
.LBB0_19:
	s_or_saveexec_b32 s0, s5
	v_sub_nc_u32_e32 v10, 0, v39
	v_sub_nc_u32_e32 v9, 0, v49
	;; [unrolled: 1-line block ×6, first 2 shown]
	s_xor_b32 exec_lo, exec_lo, s0
	s_cbranch_execz .LBB0_21
; %bb.20:
	v_mov_b32_e32 v12, 0
	s_waitcnt lgkmcnt(0)
	v_add_f32_e32 v11, v2, v3
	v_sub_f32_e32 v0, v2, v3
	ds_read_b32 v1, v12 offset:4036
	s_waitcnt lgkmcnt(0)
	v_xor_b32_e32 v2, 0x80000000, v1
	v_mov_b32_e32 v1, 0
	ds_write_b32 v12, v2 offset:4036
.LBB0_21:
	s_or_b32 exec_lo, exec_lo, s0
	v_mov_b32_e32 v39, 0
	s_waitcnt lgkmcnt(0)
	v_lshlrev_b64 v[2:3], 3, v[38:39]
	v_mov_b32_e32 v54, v39
	v_mov_b32_e32 v49, v39
	v_lshlrev_b64 v[13:14], 3, v[53:54]
	v_add_co_u32 v2, s0, s1, v2
	v_add_co_ci_u32_e64 v3, s0, s4, v3, s0
	v_mov_b32_e32 v53, v39
	v_add_co_u32 v13, s0, s1, v13
	global_load_dwordx2 v[2:3], v[2:3], off
	v_add_co_ci_u32_e64 v14, s0, s4, v14, s0
	v_lshlrev_b64 v[15:16], 3, v[52:53]
	v_mov_b32_e32 v52, v39
	v_lshlrev_b64 v[19:20], 3, v[48:49]
	global_load_dwordx2 v[13:14], v[13:14], off
	v_mov_b32_e32 v48, v39
	v_add_co_u32 v15, s0, s1, v15
	v_add_co_ci_u32_e64 v16, s0, s4, v16, s0
	v_lshlrev_b64 v[17:18], 3, v[51:52]
	v_lshlrev_b64 v[21:22], 3, v[47:48]
	v_mov_b32_e32 v47, v39
	global_load_dwordx2 v[15:16], v[15:16], off
	v_mov_b32_e32 v51, v39
	v_add_co_u32 v17, s0, s1, v17
	v_add_co_ci_u32_e64 v18, s0, s4, v18, s0
	v_add_co_u32 v19, s0, s1, v19
	v_add_co_ci_u32_e64 v20, s0, s4, v20, s0
	global_load_dwordx2 v[17:18], v[17:18], off
	v_add_co_u32 v21, s0, s1, v21
	global_load_dwordx2 v[19:20], v[19:20], off
	v_add_co_ci_u32_e64 v22, s0, s4, v22, s0
	v_lshlrev_b64 v[23:24], 3, v[46:47]
	global_load_dwordx2 v[21:22], v[21:22], off
	ds_write2_b32 v43, v11, v12 offset1:1
	ds_write_b64 v4, v[0:1] offset:8064
	ds_read_b64 v[0:1], v67
	ds_read_b64 v[11:12], v4 offset:7616
	v_add_co_u32 v23, s0, s1, v23
	v_add_co_ci_u32_e64 v24, s0, s4, v24, s0
	global_load_dwordx2 v[23:24], v[23:24], off
	s_waitcnt lgkmcnt(0)
	v_sub_f32_e32 v25, v0, v11
	v_add_f32_e32 v26, v1, v12
	v_sub_f32_e32 v1, v1, v12
	v_add_f32_e32 v11, v0, v11
	v_mul_f32_e32 v12, 0.5, v25
	v_mul_f32_e32 v25, 0.5, v26
	v_mul_f32_e32 v26, 0.5, v1
	v_lshlrev_b64 v[0:1], 3, v[50:51]
	v_add_co_u32 v0, s0, s1, v0
	v_add_co_ci_u32_e64 v1, s0, s4, v1, s0
	global_load_dwordx2 v[0:1], v[0:1], off
	s_waitcnt vmcnt(7)
	v_mul_f32_e32 v27, v3, v12
	v_fma_f32 v28, v25, v3, v26
	v_fma_f32 v3, v25, v3, -v26
	v_fma_f32 v26, 0.5, v11, v27
	v_fma_f32 v11, v11, 0.5, -v27
	v_fma_f32 v27, -v2, v12, v28
	v_fma_f32 v3, -v2, v12, v3
	v_fmac_f32_e32 v26, v2, v25
	v_fma_f32 v2, -v2, v25, v11
	ds_write2_b32 v67, v26, v27 offset1:1
	ds_write_b64 v4, v[2:3] offset:7616
	ds_read_b64 v[2:3], v75
	ds_read_b64 v[11:12], v4 offset:7168
	s_waitcnt lgkmcnt(0)
	v_sub_f32_e32 v25, v2, v11
	v_add_f32_e32 v26, v3, v12
	v_sub_f32_e32 v3, v3, v12
	v_add_f32_e32 v2, v2, v11
	v_mul_f32_e32 v12, 0.5, v25
	v_mul_f32_e32 v25, 0.5, v26
	v_mul_f32_e32 v3, 0.5, v3
	s_waitcnt vmcnt(6)
	v_mul_f32_e32 v11, v14, v12
	v_fma_f32 v26, v25, v14, v3
	v_fma_f32 v3, v25, v14, -v3
	v_fma_f32 v14, 0.5, v2, v11
	v_fma_f32 v2, v2, 0.5, -v11
	v_fma_f32 v11, -v13, v12, v26
	v_fma_f32 v3, -v13, v12, v3
	v_add_nc_u32_e32 v12, v66, v10
	v_fmac_f32_e32 v14, v13, v25
	v_fma_f32 v2, -v13, v25, v2
	ds_write_b32 v75, v11 offset:4
	ds_write_b32 v4, v3 offset:7172
	ds_write_b32 v75, v14
	ds_write_b32 v4, v2 offset:7168
	ds_read_b64 v[2:3], v12
	ds_read_b64 v[10:11], v4 offset:6720
	s_waitcnt lgkmcnt(0)
	v_sub_f32_e32 v13, v2, v10
	v_add_f32_e32 v14, v3, v11
	v_sub_f32_e32 v3, v3, v11
	v_add_f32_e32 v2, v2, v10
	v_mul_f32_e32 v11, 0.5, v13
	v_mul_f32_e32 v13, 0.5, v14
	v_mul_f32_e32 v3, 0.5, v3
	s_waitcnt vmcnt(5)
	v_mul_f32_e32 v10, v16, v11
	v_fma_f32 v14, v13, v16, v3
	v_fma_f32 v3, v13, v16, -v3
	v_fma_f32 v16, 0.5, v2, v10
	v_fma_f32 v2, v2, 0.5, -v10
	v_fma_f32 v10, -v15, v11, v14
	v_fma_f32 v3, -v15, v11, v3
	v_add_nc_u32_e32 v11, v65, v9
	v_fmac_f32_e32 v16, v15, v13
	v_fma_f32 v2, -v15, v13, v2
	ds_write_b32 v12, v10 offset:4
	ds_write_b32 v4, v3 offset:6724
	ds_write_b32 v12, v16
	ds_write_b32 v4, v2 offset:6720
	;; [unrolled: 25-line block ×6, first 2 shown]
	ds_read_b64 v[2:3], v7
	ds_read_b64 v[5:6], v4 offset:4480
	s_waitcnt lgkmcnt(0)
	v_sub_f32_e32 v8, v2, v5
	v_add_f32_e32 v9, v3, v6
	v_sub_f32_e32 v3, v3, v6
	v_add_f32_e32 v2, v2, v5
	v_mul_f32_e32 v6, 0.5, v8
	v_mul_f32_e32 v8, 0.5, v9
	v_mul_f32_e32 v3, 0.5, v3
	s_waitcnt vmcnt(0)
	v_mul_f32_e32 v5, v1, v6
	v_fma_f32 v9, v8, v1, v3
	v_fma_f32 v1, v8, v1, -v3
	v_fma_f32 v3, 0.5, v2, v5
	v_fma_f32 v2, v2, 0.5, -v5
	v_fma_f32 v5, -v0, v6, v9
	v_fma_f32 v1, -v0, v6, v1
	v_fmac_f32_e32 v3, v0, v8
	v_fma_f32 v0, -v0, v8, v2
	ds_write_b32 v7, v5 offset:4
	ds_write_b32 v4, v1 offset:4484
	ds_write_b32 v7, v3
	ds_write_b32 v4, v0 offset:4480
	s_waitcnt lgkmcnt(0)
	s_barrier
	buffer_gl0_inv
	s_and_saveexec_b32 s0, vcc_lo
	s_cbranch_execz .LBB0_24
; %bb.22:
	ds_read2_b64 v[2:5], v43 offset1:56
	ds_read2_b64 v[6:9], v43 offset0:112 offset1:168
	v_mov_b32_e32 v37, v39
	v_add_nc_u32_e32 v10, 0x400, v43
	v_add_nc_u32_e32 v20, 0x800, v43
	v_add_co_u32 v0, vcc_lo, s2, v44
	v_lshlrev_b64 v[18:19], 3, v[36:37]
	ds_read2_b64 v[10:13], v10 offset0:96 offset1:152
	ds_read2_b64 v[14:17], v20 offset0:80 offset1:136
	v_add_co_ci_u32_e32 v1, vcc_lo, s3, v45, vcc_lo
	v_mov_b32_e32 v41, v39
	v_add_co_u32 v22, vcc_lo, v0, v18
	v_add_co_ci_u32_e32 v23, vcc_lo, v1, v19, vcc_lo
	v_add_nc_u32_e32 v18, 0x1000, v43
	v_add_co_u32 v24, vcc_lo, 0x800, v22
	v_add_co_ci_u32_e32 v25, vcc_lo, 0, v23, vcc_lo
	s_waitcnt lgkmcnt(3)
	global_store_dwordx2 v[22:23], v[2:3], off
	global_store_dwordx2 v[22:23], v[4:5], off offset:448
	s_waitcnt lgkmcnt(2)
	global_store_dwordx2 v[22:23], v[6:7], off offset:896
	global_store_dwordx2 v[22:23], v[8:9], off offset:1344
	ds_read2_b64 v[2:5], v20 offset0:192 offset1:248
	ds_read2_b64 v[6:9], v18 offset0:48 offset1:104
	;; [unrolled: 1-line block ×3, first 2 shown]
	s_waitcnt lgkmcnt(4)
	global_store_dwordx2 v[22:23], v[10:11], off offset:1792
	v_lshlrev_b64 v[10:11], 3, v[40:41]
	global_store_dwordx2 v[24:25], v[12:13], off offset:192
	s_waitcnt lgkmcnt(3)
	global_store_dwordx2 v[24:25], v[14:15], off offset:640
	global_store_dwordx2 v[24:25], v[16:17], off offset:1088
	v_add_nc_u32_e32 v14, 0x1800, v43
	v_mov_b32_e32 v43, v39
	v_add_co_u32 v26, vcc_lo, v0, v10
	v_add_co_ci_u32_e32 v27, vcc_lo, v1, v11, vcc_lo
	ds_read2_b64 v[10:13], v14 offset0:16 offset1:72
	ds_read2_b64 v[14:17], v14 offset0:128 offset1:184
	v_add_co_u32 v28, vcc_lo, 0x1000, v22
	v_add_co_ci_u32_e32 v29, vcc_lo, 0, v23, vcc_lo
	s_waitcnt lgkmcnt(4)
	global_store_dwordx2 v[26:27], v[2:3], off
	v_lshlrev_b64 v[2:3], 3, v[42:43]
	global_store_dwordx2 v[24:25], v[4:5], off offset:1984
	s_waitcnt lgkmcnt(3)
	global_store_dwordx2 v[28:29], v[6:7], off offset:384
	global_store_dwordx2 v[28:29], v[8:9], off offset:832
	s_waitcnt lgkmcnt(2)
	global_store_dwordx2 v[28:29], v[18:19], off offset:1280
	v_add_co_u32 v4, vcc_lo, 0x1800, v22
	v_add_co_ci_u32_e32 v5, vcc_lo, 0, v23, vcc_lo
	v_add_co_u32 v2, vcc_lo, v0, v2
	v_add_co_ci_u32_e32 v3, vcc_lo, v1, v3, vcc_lo
	v_cmp_eq_u32_e32 vcc_lo, 55, v36
	global_store_dwordx2 v[28:29], v[20:21], off offset:1728
	s_waitcnt lgkmcnt(1)
	global_store_dwordx2 v[4:5], v[10:11], off offset:128
	global_store_dwordx2 v[4:5], v[12:13], off offset:576
	s_waitcnt lgkmcnt(0)
	global_store_dwordx2 v[2:3], v[14:15], off
	global_store_dwordx2 v[4:5], v[16:17], off offset:1472
	s_and_b32 exec_lo, exec_lo, vcc_lo
	s_cbranch_execz .LBB0_24
; %bb.23:
	v_mov_b32_e32 v2, 0
	v_add_co_u32 v0, vcc_lo, 0x1800, v0
	v_add_co_ci_u32_e32 v1, vcc_lo, 0, v1, vcc_lo
	ds_read_b64 v[2:3], v2 offset:8064
	s_waitcnt lgkmcnt(0)
	global_store_dwordx2 v[0:1], v[2:3], off offset:1920
.LBB0_24:
	s_endpgm
	.section	.rodata,"a",@progbits
	.p2align	6, 0x0
	.amdhsa_kernel fft_rtc_back_len1008_factors_2_2_2_2_3_3_7_wgs_56_tpt_56_halfLds_sp_ip_CI_unitstride_sbrr_R2C_dirReg
		.amdhsa_group_segment_fixed_size 0
		.amdhsa_private_segment_fixed_size 0
		.amdhsa_kernarg_size 88
		.amdhsa_user_sgpr_count 6
		.amdhsa_user_sgpr_private_segment_buffer 1
		.amdhsa_user_sgpr_dispatch_ptr 0
		.amdhsa_user_sgpr_queue_ptr 0
		.amdhsa_user_sgpr_kernarg_segment_ptr 1
		.amdhsa_user_sgpr_dispatch_id 0
		.amdhsa_user_sgpr_flat_scratch_init 0
		.amdhsa_user_sgpr_private_segment_size 0
		.amdhsa_wavefront_size32 1
		.amdhsa_uses_dynamic_stack 0
		.amdhsa_system_sgpr_private_segment_wavefront_offset 0
		.amdhsa_system_sgpr_workgroup_id_x 1
		.amdhsa_system_sgpr_workgroup_id_y 0
		.amdhsa_system_sgpr_workgroup_id_z 0
		.amdhsa_system_sgpr_workgroup_info 0
		.amdhsa_system_vgpr_workitem_id 0
		.amdhsa_next_free_vgpr 109
		.amdhsa_next_free_sgpr 21
		.amdhsa_reserve_vcc 1
		.amdhsa_reserve_flat_scratch 0
		.amdhsa_float_round_mode_32 0
		.amdhsa_float_round_mode_16_64 0
		.amdhsa_float_denorm_mode_32 3
		.amdhsa_float_denorm_mode_16_64 3
		.amdhsa_dx10_clamp 1
		.amdhsa_ieee_mode 1
		.amdhsa_fp16_overflow 0
		.amdhsa_workgroup_processor_mode 1
		.amdhsa_memory_ordered 1
		.amdhsa_forward_progress 0
		.amdhsa_shared_vgpr_count 0
		.amdhsa_exception_fp_ieee_invalid_op 0
		.amdhsa_exception_fp_denorm_src 0
		.amdhsa_exception_fp_ieee_div_zero 0
		.amdhsa_exception_fp_ieee_overflow 0
		.amdhsa_exception_fp_ieee_underflow 0
		.amdhsa_exception_fp_ieee_inexact 0
		.amdhsa_exception_int_div_zero 0
	.end_amdhsa_kernel
	.text
.Lfunc_end0:
	.size	fft_rtc_back_len1008_factors_2_2_2_2_3_3_7_wgs_56_tpt_56_halfLds_sp_ip_CI_unitstride_sbrr_R2C_dirReg, .Lfunc_end0-fft_rtc_back_len1008_factors_2_2_2_2_3_3_7_wgs_56_tpt_56_halfLds_sp_ip_CI_unitstride_sbrr_R2C_dirReg
                                        ; -- End function
	.section	.AMDGPU.csdata,"",@progbits
; Kernel info:
; codeLenInByte = 12048
; NumSgprs: 23
; NumVgprs: 109
; ScratchSize: 0
; MemoryBound: 0
; FloatMode: 240
; IeeeMode: 1
; LDSByteSize: 0 bytes/workgroup (compile time only)
; SGPRBlocks: 2
; VGPRBlocks: 13
; NumSGPRsForWavesPerEU: 23
; NumVGPRsForWavesPerEU: 109
; Occupancy: 9
; WaveLimiterHint : 1
; COMPUTE_PGM_RSRC2:SCRATCH_EN: 0
; COMPUTE_PGM_RSRC2:USER_SGPR: 6
; COMPUTE_PGM_RSRC2:TRAP_HANDLER: 0
; COMPUTE_PGM_RSRC2:TGID_X_EN: 1
; COMPUTE_PGM_RSRC2:TGID_Y_EN: 0
; COMPUTE_PGM_RSRC2:TGID_Z_EN: 0
; COMPUTE_PGM_RSRC2:TIDIG_COMP_CNT: 0
	.text
	.p2alignl 6, 3214868480
	.fill 48, 4, 3214868480
	.type	__hip_cuid_5f66ffee4caa195c,@object ; @__hip_cuid_5f66ffee4caa195c
	.section	.bss,"aw",@nobits
	.globl	__hip_cuid_5f66ffee4caa195c
__hip_cuid_5f66ffee4caa195c:
	.byte	0                               ; 0x0
	.size	__hip_cuid_5f66ffee4caa195c, 1

	.ident	"AMD clang version 19.0.0git (https://github.com/RadeonOpenCompute/llvm-project roc-6.4.0 25133 c7fe45cf4b819c5991fe208aaa96edf142730f1d)"
	.section	".note.GNU-stack","",@progbits
	.addrsig
	.addrsig_sym __hip_cuid_5f66ffee4caa195c
	.amdgpu_metadata
---
amdhsa.kernels:
  - .args:
      - .actual_access:  read_only
        .address_space:  global
        .offset:         0
        .size:           8
        .value_kind:     global_buffer
      - .offset:         8
        .size:           8
        .value_kind:     by_value
      - .actual_access:  read_only
        .address_space:  global
        .offset:         16
        .size:           8
        .value_kind:     global_buffer
      - .actual_access:  read_only
        .address_space:  global
        .offset:         24
        .size:           8
        .value_kind:     global_buffer
      - .offset:         32
        .size:           8
        .value_kind:     by_value
      - .actual_access:  read_only
        .address_space:  global
        .offset:         40
        .size:           8
        .value_kind:     global_buffer
      - .actual_access:  read_only
        .address_space:  global
        .offset:         48
        .size:           8
        .value_kind:     global_buffer
      - .offset:         56
        .size:           4
        .value_kind:     by_value
      - .actual_access:  read_only
        .address_space:  global
        .offset:         64
        .size:           8
        .value_kind:     global_buffer
      - .actual_access:  read_only
        .address_space:  global
        .offset:         72
        .size:           8
        .value_kind:     global_buffer
      - .address_space:  global
        .offset:         80
        .size:           8
        .value_kind:     global_buffer
    .group_segment_fixed_size: 0
    .kernarg_segment_align: 8
    .kernarg_segment_size: 88
    .language:       OpenCL C
    .language_version:
      - 2
      - 0
    .max_flat_workgroup_size: 56
    .name:           fft_rtc_back_len1008_factors_2_2_2_2_3_3_7_wgs_56_tpt_56_halfLds_sp_ip_CI_unitstride_sbrr_R2C_dirReg
    .private_segment_fixed_size: 0
    .sgpr_count:     23
    .sgpr_spill_count: 0
    .symbol:         fft_rtc_back_len1008_factors_2_2_2_2_3_3_7_wgs_56_tpt_56_halfLds_sp_ip_CI_unitstride_sbrr_R2C_dirReg.kd
    .uniform_work_group_size: 1
    .uses_dynamic_stack: false
    .vgpr_count:     109
    .vgpr_spill_count: 0
    .wavefront_size: 32
    .workgroup_processor_mode: 1
amdhsa.target:   amdgcn-amd-amdhsa--gfx1030
amdhsa.version:
  - 1
  - 2
...

	.end_amdgpu_metadata
